;; amdgpu-corpus repo=ROCm/rocFFT kind=compiled arch=gfx1201 opt=O3
	.text
	.amdgcn_target "amdgcn-amd-amdhsa--gfx1201"
	.amdhsa_code_object_version 6
	.protected	fft_rtc_back_len2028_factors_13_4_3_13_wgs_156_tpt_156_half_ip_CI_unitstride_sbrr_dirReg ; -- Begin function fft_rtc_back_len2028_factors_13_4_3_13_wgs_156_tpt_156_half_ip_CI_unitstride_sbrr_dirReg
	.globl	fft_rtc_back_len2028_factors_13_4_3_13_wgs_156_tpt_156_half_ip_CI_unitstride_sbrr_dirReg
	.p2align	8
	.type	fft_rtc_back_len2028_factors_13_4_3_13_wgs_156_tpt_156_half_ip_CI_unitstride_sbrr_dirReg,@function
fft_rtc_back_len2028_factors_13_4_3_13_wgs_156_tpt_156_half_ip_CI_unitstride_sbrr_dirReg: ; @fft_rtc_back_len2028_factors_13_4_3_13_wgs_156_tpt_156_half_ip_CI_unitstride_sbrr_dirReg
; %bb.0:
	s_clause 0x2
	s_load_b128 s[4:7], s[0:1], 0x0
	s_load_b64 s[8:9], s[0:1], 0x50
	s_load_b64 s[10:11], s[0:1], 0x18
	v_mul_u32_u24_e32 v1, 0x1a5, v0
	v_mov_b32_e32 v3, 0
	s_delay_alu instid0(VALU_DEP_2) | instskip(NEXT) | instid1(VALU_DEP_1)
	v_lshrrev_b32_e32 v1, 16, v1
	v_add_nc_u32_e32 v5, ttmp9, v1
	v_mov_b32_e32 v1, 0
	v_mov_b32_e32 v2, 0
	;; [unrolled: 1-line block ×3, first 2 shown]
	s_wait_kmcnt 0x0
	v_cmp_lt_u64_e64 s2, s[6:7], 2
	s_delay_alu instid0(VALU_DEP_1)
	s_and_b32 vcc_lo, exec_lo, s2
	s_cbranch_vccnz .LBB0_8
; %bb.1:
	s_load_b64 s[2:3], s[0:1], 0x10
	v_mov_b32_e32 v1, 0
	v_mov_b32_e32 v2, 0
	s_add_nc_u64 s[12:13], s[10:11], 8
	s_mov_b64 s[14:15], 1
	s_wait_kmcnt 0x0
	s_add_nc_u64 s[16:17], s[2:3], 8
	s_mov_b32 s3, 0
.LBB0_2:                                ; =>This Inner Loop Header: Depth=1
	s_load_b64 s[18:19], s[16:17], 0x0
                                        ; implicit-def: $vgpr7_vgpr8
	s_mov_b32 s2, exec_lo
	s_wait_kmcnt 0x0
	v_or_b32_e32 v4, s19, v6
	s_delay_alu instid0(VALU_DEP_1)
	v_cmpx_ne_u64_e32 0, v[3:4]
	s_wait_alu 0xfffe
	s_xor_b32 s20, exec_lo, s2
	s_cbranch_execz .LBB0_4
; %bb.3:                                ;   in Loop: Header=BB0_2 Depth=1
	s_cvt_f32_u32 s2, s18
	s_cvt_f32_u32 s21, s19
	s_sub_nc_u64 s[24:25], 0, s[18:19]
	s_wait_alu 0xfffe
	s_delay_alu instid0(SALU_CYCLE_1) | instskip(SKIP_1) | instid1(SALU_CYCLE_2)
	s_fmamk_f32 s2, s21, 0x4f800000, s2
	s_wait_alu 0xfffe
	v_s_rcp_f32 s2, s2
	s_delay_alu instid0(TRANS32_DEP_1) | instskip(SKIP_1) | instid1(SALU_CYCLE_2)
	s_mul_f32 s2, s2, 0x5f7ffffc
	s_wait_alu 0xfffe
	s_mul_f32 s21, s2, 0x2f800000
	s_wait_alu 0xfffe
	s_delay_alu instid0(SALU_CYCLE_2) | instskip(SKIP_1) | instid1(SALU_CYCLE_2)
	s_trunc_f32 s21, s21
	s_wait_alu 0xfffe
	s_fmamk_f32 s2, s21, 0xcf800000, s2
	s_cvt_u32_f32 s23, s21
	s_wait_alu 0xfffe
	s_delay_alu instid0(SALU_CYCLE_1) | instskip(SKIP_1) | instid1(SALU_CYCLE_2)
	s_cvt_u32_f32 s22, s2
	s_wait_alu 0xfffe
	s_mul_u64 s[26:27], s[24:25], s[22:23]
	s_wait_alu 0xfffe
	s_mul_hi_u32 s29, s22, s27
	s_mul_i32 s28, s22, s27
	s_mul_hi_u32 s2, s22, s26
	s_mul_i32 s30, s23, s26
	s_wait_alu 0xfffe
	s_add_nc_u64 s[28:29], s[2:3], s[28:29]
	s_mul_hi_u32 s21, s23, s26
	s_mul_hi_u32 s31, s23, s27
	s_add_co_u32 s2, s28, s30
	s_wait_alu 0xfffe
	s_add_co_ci_u32 s2, s29, s21
	s_mul_i32 s26, s23, s27
	s_add_co_ci_u32 s27, s31, 0
	s_wait_alu 0xfffe
	s_add_nc_u64 s[26:27], s[2:3], s[26:27]
	s_wait_alu 0xfffe
	v_add_co_u32 v4, s2, s22, s26
	s_delay_alu instid0(VALU_DEP_1) | instskip(SKIP_1) | instid1(VALU_DEP_1)
	s_cmp_lg_u32 s2, 0
	s_add_co_ci_u32 s23, s23, s27
	v_readfirstlane_b32 s22, v4
	s_wait_alu 0xfffe
	s_delay_alu instid0(VALU_DEP_1)
	s_mul_u64 s[24:25], s[24:25], s[22:23]
	s_wait_alu 0xfffe
	s_mul_hi_u32 s27, s22, s25
	s_mul_i32 s26, s22, s25
	s_mul_hi_u32 s2, s22, s24
	s_mul_i32 s28, s23, s24
	s_wait_alu 0xfffe
	s_add_nc_u64 s[26:27], s[2:3], s[26:27]
	s_mul_hi_u32 s21, s23, s24
	s_mul_hi_u32 s22, s23, s25
	s_wait_alu 0xfffe
	s_add_co_u32 s2, s26, s28
	s_add_co_ci_u32 s2, s27, s21
	s_mul_i32 s24, s23, s25
	s_add_co_ci_u32 s25, s22, 0
	s_wait_alu 0xfffe
	s_add_nc_u64 s[24:25], s[2:3], s[24:25]
	s_wait_alu 0xfffe
	v_add_co_u32 v4, s2, v4, s24
	s_delay_alu instid0(VALU_DEP_1) | instskip(SKIP_1) | instid1(VALU_DEP_1)
	s_cmp_lg_u32 s2, 0
	s_add_co_ci_u32 s2, s23, s25
	v_mul_hi_u32 v13, v5, v4
	s_wait_alu 0xfffe
	v_mad_co_u64_u32 v[7:8], null, v5, s2, 0
	v_mad_co_u64_u32 v[9:10], null, v6, v4, 0
	;; [unrolled: 1-line block ×3, first 2 shown]
	s_delay_alu instid0(VALU_DEP_3) | instskip(SKIP_1) | instid1(VALU_DEP_4)
	v_add_co_u32 v4, vcc_lo, v13, v7
	s_wait_alu 0xfffd
	v_add_co_ci_u32_e32 v7, vcc_lo, 0, v8, vcc_lo
	s_delay_alu instid0(VALU_DEP_2) | instskip(SKIP_1) | instid1(VALU_DEP_2)
	v_add_co_u32 v4, vcc_lo, v4, v9
	s_wait_alu 0xfffd
	v_add_co_ci_u32_e32 v4, vcc_lo, v7, v10, vcc_lo
	s_wait_alu 0xfffd
	v_add_co_ci_u32_e32 v7, vcc_lo, 0, v12, vcc_lo
	s_delay_alu instid0(VALU_DEP_2) | instskip(SKIP_1) | instid1(VALU_DEP_2)
	v_add_co_u32 v4, vcc_lo, v4, v11
	s_wait_alu 0xfffd
	v_add_co_ci_u32_e32 v9, vcc_lo, 0, v7, vcc_lo
	s_delay_alu instid0(VALU_DEP_2) | instskip(SKIP_1) | instid1(VALU_DEP_3)
	v_mul_lo_u32 v10, s19, v4
	v_mad_co_u64_u32 v[7:8], null, s18, v4, 0
	v_mul_lo_u32 v11, s18, v9
	s_delay_alu instid0(VALU_DEP_2) | instskip(NEXT) | instid1(VALU_DEP_2)
	v_sub_co_u32 v7, vcc_lo, v5, v7
	v_add3_u32 v8, v8, v11, v10
	s_delay_alu instid0(VALU_DEP_1) | instskip(SKIP_1) | instid1(VALU_DEP_1)
	v_sub_nc_u32_e32 v10, v6, v8
	s_wait_alu 0xfffd
	v_subrev_co_ci_u32_e64 v10, s2, s19, v10, vcc_lo
	v_add_co_u32 v11, s2, v4, 2
	s_wait_alu 0xf1ff
	v_add_co_ci_u32_e64 v12, s2, 0, v9, s2
	v_sub_co_u32 v13, s2, v7, s18
	v_sub_co_ci_u32_e32 v8, vcc_lo, v6, v8, vcc_lo
	s_wait_alu 0xf1ff
	v_subrev_co_ci_u32_e64 v10, s2, 0, v10, s2
	s_delay_alu instid0(VALU_DEP_3) | instskip(NEXT) | instid1(VALU_DEP_3)
	v_cmp_le_u32_e32 vcc_lo, s18, v13
	v_cmp_eq_u32_e64 s2, s19, v8
	s_wait_alu 0xfffd
	v_cndmask_b32_e64 v13, 0, -1, vcc_lo
	v_cmp_le_u32_e32 vcc_lo, s19, v10
	s_wait_alu 0xfffd
	v_cndmask_b32_e64 v14, 0, -1, vcc_lo
	v_cmp_le_u32_e32 vcc_lo, s18, v7
	;; [unrolled: 3-line block ×3, first 2 shown]
	s_wait_alu 0xfffd
	v_cndmask_b32_e64 v15, 0, -1, vcc_lo
	v_cmp_eq_u32_e32 vcc_lo, s19, v10
	s_wait_alu 0xf1ff
	s_delay_alu instid0(VALU_DEP_2)
	v_cndmask_b32_e64 v7, v15, v7, s2
	s_wait_alu 0xfffd
	v_cndmask_b32_e32 v10, v14, v13, vcc_lo
	v_add_co_u32 v13, vcc_lo, v4, 1
	s_wait_alu 0xfffd
	v_add_co_ci_u32_e32 v14, vcc_lo, 0, v9, vcc_lo
	s_delay_alu instid0(VALU_DEP_3) | instskip(SKIP_2) | instid1(VALU_DEP_3)
	v_cmp_ne_u32_e32 vcc_lo, 0, v10
	s_wait_alu 0xfffd
	v_cndmask_b32_e32 v10, v13, v11, vcc_lo
	v_cndmask_b32_e32 v8, v14, v12, vcc_lo
	v_cmp_ne_u32_e32 vcc_lo, 0, v7
	s_wait_alu 0xfffd
	s_delay_alu instid0(VALU_DEP_2)
	v_dual_cndmask_b32 v7, v4, v10 :: v_dual_cndmask_b32 v8, v9, v8
.LBB0_4:                                ;   in Loop: Header=BB0_2 Depth=1
	s_wait_alu 0xfffe
	s_and_not1_saveexec_b32 s2, s20
	s_cbranch_execz .LBB0_6
; %bb.5:                                ;   in Loop: Header=BB0_2 Depth=1
	v_cvt_f32_u32_e32 v4, s18
	s_sub_co_i32 s20, 0, s18
	s_delay_alu instid0(VALU_DEP_1) | instskip(NEXT) | instid1(TRANS32_DEP_1)
	v_rcp_iflag_f32_e32 v4, v4
	v_mul_f32_e32 v4, 0x4f7ffffe, v4
	s_delay_alu instid0(VALU_DEP_1) | instskip(SKIP_1) | instid1(VALU_DEP_1)
	v_cvt_u32_f32_e32 v4, v4
	s_wait_alu 0xfffe
	v_mul_lo_u32 v7, s20, v4
	s_delay_alu instid0(VALU_DEP_1) | instskip(NEXT) | instid1(VALU_DEP_1)
	v_mul_hi_u32 v7, v4, v7
	v_add_nc_u32_e32 v4, v4, v7
	s_delay_alu instid0(VALU_DEP_1) | instskip(NEXT) | instid1(VALU_DEP_1)
	v_mul_hi_u32 v4, v5, v4
	v_mul_lo_u32 v7, v4, s18
	v_add_nc_u32_e32 v8, 1, v4
	s_delay_alu instid0(VALU_DEP_2) | instskip(NEXT) | instid1(VALU_DEP_1)
	v_sub_nc_u32_e32 v7, v5, v7
	v_subrev_nc_u32_e32 v9, s18, v7
	v_cmp_le_u32_e32 vcc_lo, s18, v7
	s_wait_alu 0xfffd
	s_delay_alu instid0(VALU_DEP_2) | instskip(NEXT) | instid1(VALU_DEP_1)
	v_dual_cndmask_b32 v7, v7, v9 :: v_dual_cndmask_b32 v4, v4, v8
	v_cmp_le_u32_e32 vcc_lo, s18, v7
	s_delay_alu instid0(VALU_DEP_2) | instskip(SKIP_1) | instid1(VALU_DEP_1)
	v_add_nc_u32_e32 v8, 1, v4
	s_wait_alu 0xfffd
	v_dual_cndmask_b32 v7, v4, v8 :: v_dual_mov_b32 v8, v3
.LBB0_6:                                ;   in Loop: Header=BB0_2 Depth=1
	s_wait_alu 0xfffe
	s_or_b32 exec_lo, exec_lo, s2
	s_load_b64 s[20:21], s[12:13], 0x0
	s_delay_alu instid0(VALU_DEP_1)
	v_mul_lo_u32 v4, v8, s18
	v_mul_lo_u32 v11, v7, s19
	v_mad_co_u64_u32 v[9:10], null, v7, s18, 0
	s_add_nc_u64 s[14:15], s[14:15], 1
	s_add_nc_u64 s[12:13], s[12:13], 8
	s_wait_alu 0xfffe
	v_cmp_ge_u64_e64 s2, s[14:15], s[6:7]
	s_add_nc_u64 s[16:17], s[16:17], 8
	s_delay_alu instid0(VALU_DEP_2) | instskip(NEXT) | instid1(VALU_DEP_3)
	v_add3_u32 v4, v10, v11, v4
	v_sub_co_u32 v5, vcc_lo, v5, v9
	s_wait_alu 0xfffd
	s_delay_alu instid0(VALU_DEP_2) | instskip(SKIP_3) | instid1(VALU_DEP_2)
	v_sub_co_ci_u32_e32 v4, vcc_lo, v6, v4, vcc_lo
	s_and_b32 vcc_lo, exec_lo, s2
	s_wait_kmcnt 0x0
	v_mul_lo_u32 v6, s21, v5
	v_mul_lo_u32 v4, s20, v4
	v_mad_co_u64_u32 v[1:2], null, s20, v5, v[1:2]
	s_delay_alu instid0(VALU_DEP_1)
	v_add3_u32 v2, v6, v2, v4
	s_wait_alu 0xfffe
	s_cbranch_vccnz .LBB0_9
; %bb.7:                                ;   in Loop: Header=BB0_2 Depth=1
	v_dual_mov_b32 v5, v7 :: v_dual_mov_b32 v6, v8
	s_branch .LBB0_2
.LBB0_8:
	v_dual_mov_b32 v8, v6 :: v_dual_mov_b32 v7, v5
.LBB0_9:
	s_lshl_b64 s[2:3], s[6:7], 3
	v_mul_hi_u32 v3, 0x1a41a42, v0
	s_wait_alu 0xfffe
	s_add_nc_u64 s[2:3], s[10:11], s[2:3]
                                        ; implicit-def: $vgpr13
                                        ; implicit-def: $vgpr12
                                        ; implicit-def: $vgpr14
                                        ; implicit-def: $vgpr11
                                        ; implicit-def: $vgpr15
                                        ; implicit-def: $vgpr10
                                        ; implicit-def: $vgpr16
                                        ; implicit-def: $vgpr17
                                        ; implicit-def: $vgpr18
	s_load_b64 s[2:3], s[2:3], 0x0
	s_load_b64 s[0:1], s[0:1], 0x20
	s_wait_kmcnt 0x0
	v_mul_lo_u32 v4, s2, v8
	v_mul_lo_u32 v9, s3, v7
	v_mad_co_u64_u32 v[5:6], null, s2, v7, v[1:2]
	v_mul_u32_u24_e32 v1, 0x9c, v3
	v_cmp_gt_u64_e32 vcc_lo, s[0:1], v[7:8]
	v_mov_b32_e32 v2, 0
	v_mov_b32_e32 v3, 0
                                        ; implicit-def: $vgpr8
                                        ; implicit-def: $vgpr7
	v_add3_u32 v6, v9, v6, v4
	v_sub_nc_u32_e32 v4, v0, v1
                                        ; implicit-def: $vgpr9
	s_delay_alu instid0(VALU_DEP_2)
	v_lshlrev_b64_e32 v[0:1], 2, v[5:6]
	v_mov_b32_e32 v6, 0
	s_and_saveexec_b32 s1, vcc_lo
; %bb.10:
	v_mov_b32_e32 v5, 0
	s_delay_alu instid0(VALU_DEP_3) | instskip(SKIP_2) | instid1(VALU_DEP_3)
	v_add_co_u32 v6, s0, s8, v0
	s_wait_alu 0xf1ff
	v_add_co_ci_u32_e64 v7, s0, s9, v1, s0
	v_lshlrev_b64_e32 v[2:3], 2, v[4:5]
	s_delay_alu instid0(VALU_DEP_1) | instskip(SKIP_1) | instid1(VALU_DEP_2)
	v_add_co_u32 v2, s0, v6, v2
	s_wait_alu 0xf1ff
	v_add_co_ci_u32_e64 v3, s0, v7, v3, s0
	s_clause 0xc
	global_load_b32 v6, v[2:3], off
	global_load_b32 v18, v[2:3], off offset:624
	global_load_b32 v17, v[2:3], off offset:1248
	;; [unrolled: 1-line block ×12, first 2 shown]
	v_dual_mov_b32 v2, v4 :: v_dual_mov_b32 v3, v5
; %bb.11:
	s_wait_alu 0xfffe
	s_or_b32 exec_lo, exec_lo, s1
	s_wait_loadcnt 0x0
	v_pk_add_f16 v5, v18, v7 neg_lo:[0,1] neg_hi:[0,1]
	v_pk_add_f16 v19, v18, v7
	v_pk_add_f16 v18, v18, v6
	v_pk_add_f16 v37, v17, v8 neg_lo:[0,1] neg_hi:[0,1]
	v_pk_add_f16 v41, v17, v8
	v_pk_add_f16 v54, v16, v9
	;; [unrolled: 3-line block ×3, first 2 shown]
	v_pk_add_f16 v67, v15, v10 neg_lo:[0,1] neg_hi:[0,1]
	v_pk_add_f16 v79, v14, v11
	v_pk_add_f16 v80, v14, v11 neg_lo:[0,1] neg_hi:[0,1]
	v_pk_add_f16 v16, v16, v17
	v_pk_add_f16 v87, v13, v12
	v_lshrrev_b32_e32 v20, 16, v5
	v_lshrrev_b32_e32 v45, 16, v41
	v_mul_f16_e32 v46, 0xba95, v37
	v_pk_add_f16 v15, v15, v16
	v_mul_f16_e32 v47, 0xbb7b, v37
	v_mul_f16_e32 v49, 0xb3a8, v37
	v_mul_f16_e32 v53, 0x394e, v37
	v_mul_f16_e32 v56, 0x3bf1, v37
	v_pk_add_f16 v14, v14, v15
	v_mul_f16_e32 v25, 0xb770, v20
	v_lshrrev_b32_e32 v40, 16, v37
	v_fma_f16 v48, v45, 0x388b, -v46
	v_fmac_f16_e32 v46, 0x388b, v45
	v_pk_add_f16 v14, v13, v14
	v_pk_add_f16 v13, v13, v12 neg_lo:[0,1] neg_hi:[0,1]
	v_fma_f16 v51, v45, 0xb5ac, -v47
	v_fmac_f16_e32 v47, 0xb5ac, v45
	v_fma_f16 v52, v45, 0xbbc4, -v49
	v_pk_add_f16 v12, v12, v14
	v_fmac_f16_e32 v49, 0xbbc4, v45
	v_fma_f16 v57, v45, 0xb9fd, -v53
	v_fmac_f16_e32 v53, 0xb9fd, v45
	v_lshrrev_b32_e32 v58, 16, v54
	v_pk_add_f16 v11, v11, v12
	v_mul_f16_e32 v59, 0xbbf1, v55
	v_fma_f16 v60, v45, 0x2fb7, -v56
	v_mul_f16_e32 v61, 0xb3a8, v55
	v_fmac_f16_e32 v56, 0x2fb7, v45
	v_mul_f16_e32 v45, 0x3b7b, v55
	v_mul_f16_e32 v65, 0x3770, v55
	;; [unrolled: 1-line block ×3, first 2 shown]
	v_lshrrev_b32_e32 v70, 16, v66
	v_mul_f16_e32 v71, 0xbb7b, v67
	v_mul_f16_e32 v73, 0x394e, v67
	v_mul_f16_e32 v74, 0x3770, v67
	v_mul_f16_e32 v76, 0xbbf1, v67
	v_mul_f16_e32 v18, 0x33a8, v67
	v_pk_add_f16 v10, v10, v11
	v_lshrrev_b32_e32 v21, 16, v19
	v_mul_f16_e32 v22, 0xb770, v5
	v_mul_f16_e32 v23, 0xba95, v5
	;; [unrolled: 1-line block ×4, first 2 shown]
	v_fmamk_f16 v30, v19, 0x3b15, v25
	v_mul_f16_e32 v35, 0xbb7b, v5
	v_mul_f16_e32 v39, 0xb94e, v5
	;; [unrolled: 1-line block ×3, first 2 shown]
	v_fma_f16 v62, v58, 0x2fb7, -v59
	v_fmac_f16_e32 v59, 0x2fb7, v58
	v_fma_f16 v63, v58, 0xbbc4, -v61
	v_fmac_f16_e32 v61, 0xbbc4, v58
	;; [unrolled: 2-line block ×9, first 2 shown]
	v_lshrrev_b32_e32 v81, 16, v79
	v_mul_f16_e32 v82, 0xb94e, v80
	v_fma_f16 v17, v70, 0xbbc4, -v18
	v_fmac_f16_e32 v18, 0xbbc4, v70
	v_mul_f16_e32 v70, 0x3bf1, v80
	v_mul_f16_e32 v16, 0xba95, v80
	;; [unrolled: 1-line block ×4, first 2 shown]
	v_lshrrev_b32_e32 v14, 16, v87
	v_mul_f16_e32 v89, 0xb3a8, v13
	v_mul_f16_e32 v12, 0x3770, v13
	;; [unrolled: 1-line block ×4, first 2 shown]
	v_pk_add_f16 v9, v9, v10
	v_mul_f16_e32 v10, 0xbb7b, v13
	v_fma_f16 v26, v21, 0x3b15, -v22
	v_fmac_f16_e32 v22, 0x3b15, v21
	v_fma_f16 v28, v21, 0x388b, -v23
	v_mul_f16_e32 v29, 0xbbf1, v20
	v_fmamk_f16 v31, v19, 0x388b, v27
	v_fmac_f16_e32 v23, 0x388b, v21
	v_mul_f16_e32 v33, 0xbb7b, v20
	v_fma_f16 v34, v21, 0x2fb7, -v24
	v_fmac_f16_e32 v24, 0x2fb7, v21
	v_fma_f16 v38, v21, 0xb5ac, -v35
	v_mul_f16_e32 v20, 0xb94e, v20
	v_fmac_f16_e32 v35, 0xb5ac, v21
	v_fma_f16 v43, v21, 0xb9fd, -v39
	v_fmac_f16_e32 v39, 0xb9fd, v21
	v_fmamk_f16 v21, v41, 0x388b, v44
	v_mul_f16_e32 v50, 0xbb7b, v40
	v_fma_f16 v83, v81, 0xb9fd, -v82
	v_fmac_f16_e32 v82, 0xb9fd, v81
	v_fma_f16 v84, v81, 0x2fb7, -v70
	v_fmac_f16_e32 v70, 0x2fb7, v81
	;; [unrolled: 2-line block ×9, first 2 shown]
	v_pk_add_f16 v8, v8, v9
	v_fma_f16 v9, v14, 0xb5ac, -v10
	v_fmac_f16_e32 v10, 0xb5ac, v14
	v_lshrrev_b32_e32 v14, 16, v6
	v_pk_mul_f16 v5, 0xb3a8, v5 op_sel_hi:[0,1]
	v_add_f16_e32 v30, v30, v6
	v_fma_f16 v25, v19, 0x3b15, -v25
	v_fma_f16 v27, v19, 0x388b, -v27
	v_fmamk_f16 v32, v19, 0x2fb7, v29
	v_fma_f16 v29, v19, 0x2fb7, -v29
	v_fmamk_f16 v36, v19, 0xb5ac, v33
	;; [unrolled: 2-line block ×3, first 2 shown]
	v_fma_f16 v20, v19, 0xb9fd, -v20
	v_pk_add_f16 v7, v7, v8
	v_fmamk_f16 v8, v41, 0xb5ac, v50
	v_add_f16_e32 v26, v26, v14
	v_add_f16_e32 v22, v22, v14
	;; [unrolled: 1-line block ×10, first 2 shown]
	v_pk_fma_f16 v39, 0xbbc4, v19, v5 op_sel:[0,0,1] op_sel_hi:[0,1,0]
	v_pk_fma_f16 v5, 0xbbc4, v19, v5 op_sel:[0,0,1] op_sel_hi:[0,1,0] neg_lo:[0,0,1] neg_hi:[0,0,1]
	v_mul_f16_e32 v19, 0xb3a8, v40
	v_add_f16_e32 v31, v31, v6
	v_add_f16_e32 v21, v21, v30
	v_mul_f16_e32 v30, 0x394e, v40
	v_mul_f16_e32 v40, 0x3bf1, v40
	v_fma_f16 v50, v41, 0xb5ac, -v50
	v_add_f16_e32 v27, v27, v6
	v_add_f16_e32 v20, v20, v6
	;; [unrolled: 1-line block ×3, first 2 shown]
	v_lshrrev_b32_e32 v48, 16, v55
	v_add_f16_e32 v8, v8, v31
	v_fmamk_f16 v31, v41, 0x2fb7, v40
	v_fma_f16 v40, v41, 0x2fb7, -v40
	v_pk_mul_f16 v37, 0x3770, v37 op_sel_hi:[0,1]
	v_fma_f16 v44, v41, 0x388b, -v44
	v_add_f16_e32 v25, v25, v6
	v_add_f16_e32 v32, v32, v6
	;; [unrolled: 1-line block ×6, first 2 shown]
	v_pk_add_f16 v39, v39, v6
	v_pk_add_f16 v5, v5, v6
	v_fmamk_f16 v6, v41, 0xbbc4, v19
	v_fma_f16 v19, v41, 0xbbc4, -v19
	v_add_f16_e32 v27, v50, v27
	v_mul_f16_e32 v50, 0xb3a8, v48
	v_add_f16_e32 v23, v47, v23
	v_mul_f16_e32 v47, 0x3b7b, v48
	v_add_f16_e32 v24, v49, v24
	v_lshrrev_b32_e32 v49, 16, v67
	v_add_f16_e32 v20, v40, v20
	v_pk_fma_f16 v40, 0x3b15, v41, v37 op_sel:[0,0,1] op_sel_hi:[0,1,0]
	v_pk_fma_f16 v37, 0x3b15, v41, v37 op_sel:[0,0,1] op_sel_hi:[0,1,0] neg_lo:[0,0,1] neg_hi:[0,0,1]
	v_add_f16_e32 v25, v44, v25
	v_fmamk_f16 v44, v41, 0xb9fd, v30
	v_fma_f16 v30, v41, 0xb9fd, -v30
	v_add_f16_e32 v22, v46, v22
	v_mul_f16_e32 v46, 0xbbf1, v48
	v_add_f16_e32 v6, v6, v32
	v_fmamk_f16 v32, v54, 0xbbc4, v50
	v_fma_f16 v50, v54, 0xbbc4, -v50
	v_add_f16_e32 v34, v52, v34
	v_fmamk_f16 v52, v54, 0xb5ac, v47
	v_add_f16_e32 v19, v19, v29
	v_mul_f16_e32 v29, 0x3770, v48
	v_mul_f16_e32 v48, 0xba95, v48
	v_add_f16_e32 v31, v31, v42
	v_mul_f16_e32 v42, 0x394e, v49
	v_add_f16_e32 v43, v60, v43
	v_mul_f16_e32 v60, 0x3770, v49
	v_pk_add_f16 v5, v37, v5
	v_lshrrev_b32_e32 v37, 16, v80
	v_add_f16_e32 v28, v51, v28
	v_fmamk_f16 v51, v54, 0x2fb7, v46
	v_fma_f16 v46, v54, 0x2fb7, -v46
	v_add_f16_e32 v36, v44, v36
	v_fmamk_f16 v44, v54, 0x3b15, v29
	v_fma_f16 v29, v54, 0x3b15, -v29
	v_add_f16_e32 v38, v57, v38
	v_mul_f16_e32 v57, 0xbb7b, v49
	v_add_f16_e32 v30, v30, v33
	v_fmamk_f16 v33, v54, 0x388b, v48
	v_add_f16_e32 v14, v56, v14
	v_fmamk_f16 v56, v66, 0xb9fd, v42
	v_fma_f16 v42, v66, 0xb9fd, -v42
	v_fmamk_f16 v41, v66, 0x3b15, v60
	v_pk_add_f16 v39, v40, v39
	v_mul_f16_e32 v40, 0xbbf1, v49
	v_mul_f16_e32 v49, 0x33a8, v49
	v_add_f16_e32 v8, v32, v8
	v_mul_f16_e32 v32, 0x3bf1, v37
	v_add_f16_e32 v27, v50, v27
	v_add_f16_e32 v23, v61, v23
	;; [unrolled: 1-line block ×3, first 2 shown]
	v_pk_mul_f16 v55, 0xb94e, v55 op_sel_hi:[0,1]
	v_fma_f16 v48, v54, 0x388b, -v48
	v_fma_f16 v47, v54, 0xb5ac, -v47
	v_add_f16_e32 v35, v53, v35
	v_add_f16_e32 v21, v51, v21
	v_fmamk_f16 v51, v66, 0x2fb7, v40
	v_fma_f16 v40, v66, 0x2fb7, -v40
	v_add_f16_e32 v26, v62, v26
	v_mul_f16_e32 v62, 0xb94e, v37
	v_add_f16_e32 v25, v46, v25
	v_fmamk_f16 v46, v66, 0xbbc4, v49
	v_add_f16_e32 v22, v59, v22
	v_add_f16_e32 v28, v63, v28
	v_mul_f16_e32 v63, 0xba95, v37
	v_fmamk_f16 v50, v79, 0x2fb7, v32
	v_fma_f16 v32, v79, 0x2fb7, -v32
	v_mul_f16_e32 v52, 0x33a8, v37
	v_add_f16_e32 v34, v64, v34
	v_lshrrev_b32_e32 v64, 16, v13
	v_mul_f16_e32 v37, 0x3770, v37
	v_add_f16_e32 v24, v45, v24
	v_add_f16_e32 v36, v44, v36
	v_add_f16_e32 v29, v29, v30
	v_add_f16_e32 v31, v33, v31
	v_add_f16_e32 v43, v72, v43
	v_add_f16_e32 v14, v68, v14
	v_pk_fma_f16 v68, 0xb9fd, v54, v55 op_sel:[0,0,1] op_sel_hi:[0,1,0]
	v_pk_fma_f16 v54, 0xb9fd, v54, v55 op_sel:[0,0,1] op_sel_hi:[0,1,0] neg_lo:[0,0,1] neg_hi:[0,0,1]
	v_add_f16_e32 v27, v42, v27
	v_add_f16_e32 v23, v73, v23
	;; [unrolled: 1-line block ×3, first 2 shown]
	v_pk_mul_f16 v41, 0x3a95, v67 op_sel_hi:[0,1]
	v_fmamk_f16 v53, v66, 0xb5ac, v57
	v_fma_f16 v49, v66, 0xbbc4, -v49
	v_add_f16_e32 v20, v48, v20
	v_fma_f16 v57, v66, 0xb5ac, -v57
	v_add_f16_e32 v38, v69, v38
	v_add_f16_e32 v19, v47, v19
	v_fmamk_f16 v47, v79, 0xbbc4, v52
	v_fma_f16 v52, v79, 0xbbc4, -v52
	v_mul_f16_e32 v45, 0xb3a8, v64
	v_fmamk_f16 v44, v79, 0x3b15, v37
	v_mul_f16_e32 v30, 0x3770, v64
	v_add_f16_e32 v35, v65, v35
	v_mul_f16_e32 v65, 0xb94e, v64
	v_mul_f16_e32 v48, 0x3a95, v64
	;; [unrolled: 1-line block ×3, first 2 shown]
	v_pk_add_f16 v39, v68, v39
	v_pk_add_f16 v5, v54, v5
	v_add_f16_e32 v22, v71, v22
	v_add_f16_e32 v24, v74, v24
	;; [unrolled: 1-line block ×5, first 2 shown]
	v_pk_fma_f16 v40, 0x388b, v66, v41 op_sel:[0,0,1] op_sel_hi:[0,1,0]
	v_pk_fma_f16 v41, 0x388b, v66, v41 op_sel:[0,0,1] op_sel_hi:[0,1,0] neg_lo:[0,0,1] neg_hi:[0,0,1]
	v_add_f16_e32 v17, v17, v43
	v_add_f16_e32 v27, v32, v27
	;; [unrolled: 1-line block ×3, first 2 shown]
	v_pk_mul_f16 v23, 0xbb7b, v80 op_sel_hi:[0,1]
	v_fma_f16 v60, v66, 0x3b15, -v60
	v_fmamk_f16 v59, v79, 0xb9fd, v62
	v_fma_f16 v37, v79, 0x3b15, -v37
	v_add_f16_e32 v21, v53, v21
	v_add_f16_e32 v26, v58, v26
	;; [unrolled: 1-line block ×6, first 2 shown]
	v_fma_f16 v62, v79, 0xb9fd, -v62
	v_fmamk_f16 v61, v79, 0x388b, v63
	v_add_f16_e32 v25, v57, v25
	v_add_f16_e32 v34, v77, v34
	;; [unrolled: 1-line block ×3, first 2 shown]
	v_fmamk_f16 v33, v87, 0x3b15, v30
	v_fma_f16 v30, v87, 0x3b15, -v30
	v_fmamk_f16 v55, v87, 0x388b, v48
	v_fma_f16 v48, v87, 0x388b, -v48
	v_fmamk_f16 v68, v87, 0xb5ac, v64
	v_pk_add_f16 v18, v40, v39
	v_pk_add_f16 v5, v41, v5
	v_add_f16_e32 v22, v82, v22
	v_add_f16_e32 v16, v16, v24
	;; [unrolled: 1-line block ×5, first 2 shown]
	v_pk_fma_f16 v36, 0xb5ac, v79, v23 op_sel:[0,0,1] op_sel_hi:[0,1,0]
	v_pk_fma_f16 v23, 0xb5ac, v79, v23 op_sel:[0,0,1] op_sel_hi:[0,1,0] neg_lo:[0,0,1] neg_hi:[0,0,1]
	v_add_f16_e32 v17, v90, v17
	v_pk_mul_f16 v13, 0x3bf1, v13 op_sel_hi:[0,1]
	v_add_f16_e32 v35, v76, v35
	v_fma_f16 v63, v79, 0x388b, -v63
	v_add_f16_e32 v19, v60, v19
	v_fmamk_f16 v69, v87, 0xbbc4, v45
	v_fma_f16 v64, v87, 0xb5ac, -v64
	v_add_f16_e32 v21, v59, v21
	v_add_f16_e32 v26, v83, v26
	;; [unrolled: 1-line block ×6, first 2 shown]
	v_fma_f16 v45, v87, 0xbbc4, -v45
	v_fmamk_f16 v72, v87, 0xb9fd, v65
	v_add_f16_e32 v25, v62, v25
	v_add_f16_e32 v6, v61, v6
	;; [unrolled: 1-line block ×4, first 2 shown]
	v_pk_add_f16 v18, v36, v18
	v_pk_add_f16 v5, v23, v5
	v_add_f16_e32 v23, v89, v22
	v_add_f16_e32 v22, v30, v27
	;; [unrolled: 1-line block ×4, first 2 shown]
	v_pk_fma_f16 v30, 0x2fb7, v87, v13 op_sel:[0,0,1] op_sel_hi:[0,1,0]
	v_pk_fma_f16 v13, 0x2fb7, v87, v13 op_sel:[0,0,1] op_sel_hi:[0,1,0] neg_lo:[0,0,1] neg_hi:[0,0,1]
	v_add_f16_e32 v9, v9, v17
	v_add_f16_e32 v35, v85, v35
	v_fma_f16 v65, v87, 0xb9fd, -v65
	v_add_f16_e32 v19, v63, v19
	v_mad_u32_u24 v54, v4, 52, 0
	v_add_f16_e32 v36, v69, v21
	v_add_f16_e32 v26, v81, v26
	;; [unrolled: 1-line block ×11, first 2 shown]
	v_pk_add_f16 v14, v30, v18
	v_pk_add_f16 v5, v13, v5
	v_pack_b32_f16 v9, v29, v9
	v_add_f16_e32 v28, v92, v35
	v_add_f16_e32 v12, v12, v32
	;; [unrolled: 1-line block ×4, first 2 shown]
	v_pack_b32_f16 v8, v8, v11
	v_pack_b32_f16 v11, v36, v26
	;; [unrolled: 1-line block ×3, first 2 shown]
	v_mad_i32_i24 v17, 0xffffffd0, v4, v54
	v_pack_b32_f16 v13, v24, v25
	v_pack_b32_f16 v6, v6, v15
	ds_store_2addr_b32 v54, v7, v9 offset1:5
	v_bfi_b32 v7, 0xffff, v5, v14
	v_bfi_b32 v5, 0xffff, v14, v5
	v_pack_b32_f16 v9, v27, v28
	v_pack_b32_f16 v12, v22, v12
	;; [unrolled: 1-line block ×4, first 2 shown]
	ds_store_2addr_b32 v54, v11, v8 offset0:1 offset1:2
	ds_store_2addr_b32 v54, v6, v13 offset0:3 offset1:4
	ds_store_2addr_b32 v54, v5, v7 offset0:6 offset1:7
	ds_store_2addr_b32 v54, v10, v9 offset0:8 offset1:9
	ds_store_2addr_b32 v54, v14, v12 offset0:10 offset1:11
	ds_store_b32 v54, v15 offset:48
	v_add_nc_u32_e32 v7, 0x400, v17
	v_add_nc_u32_e32 v9, 0xf00, v17
	;; [unrolled: 1-line block ×5, first 2 shown]
	global_wb scope:SCOPE_SE
	s_wait_dscnt 0x0
	s_barrier_signal -1
	s_barrier_wait -1
	global_inv scope:SCOPE_SE
	ds_load_2addr_b32 v[5:6], v17 offset1:156
	ds_load_2addr_b32 v[7:8], v7 offset0:56 offset1:251
	ds_load_2addr_b32 v[15:16], v9 offset0:54 offset1:210
	;; [unrolled: 1-line block ×5, first 2 shown]
	v_cmp_gt_u32_e64 s0, 39, v4
                                        ; implicit-def: $vgpr30
                                        ; implicit-def: $vgpr24
                                        ; implicit-def: $vgpr32
                                        ; implicit-def: $vgpr25
                                        ; implicit-def: $vgpr26
                                        ; implicit-def: $vgpr31
	s_delay_alu instid0(VALU_DEP_1)
	s_and_saveexec_b32 s1, s0
	s_cbranch_execz .LBB0_13
; %bb.12:
	ds_load_b32 v21, v17 offset:1872
	ds_load_b32 v24, v17 offset:3900
	;; [unrolled: 1-line block ×4, first 2 shown]
	s_wait_dscnt 0x3
	v_lshrrev_b32_e32 v23, 16, v21
	s_wait_dscnt 0x2
	v_lshrrev_b32_e32 v30, 16, v24
	;; [unrolled: 2-line block ×4, first 2 shown]
.LBB0_13:
	s_wait_alu 0xfffe
	s_or_b32 exec_lo, exec_lo, s1
	v_and_b32_e32 v18, 0xff, v4
	v_add_nc_u32_e32 v19, 0x138, v4
	v_add_nc_u32_e32 v20, 0x1d4, v4
	s_wait_dscnt 0x4
	v_lshrrev_b32_e32 v57, 16, v8
	s_wait_dscnt 0x3
	v_lshrrev_b32_e32 v58, 16, v15
	v_mul_lo_u16 v22, 0x4f, v18
	v_add_nc_u32_e32 v18, 0x9c, v4
	v_and_b32_e32 v29, 0xffff, v19
	s_wait_dscnt 0x2
	v_lshrrev_b32_e32 v59, 16, v10
	s_wait_dscnt 0x1
	v_lshrrev_b32_e32 v60, 16, v13
	v_lshrrev_b16 v47, 10, v22
	v_and_b32_e32 v27, 0xffff, v18
	v_mul_u32_u24_e32 v29, 0x4ec5, v29
	v_lshrrev_b32_e32 v61, 16, v16
	s_wait_dscnt 0x0
	v_lshrrev_b32_e32 v62, 16, v11
	v_mul_lo_u16 v33, v47, 13
	v_mul_u32_u24_e32 v28, 0x4ec5, v27
	v_and_b32_e32 v27, 0xffff, v20
	v_lshrrev_b32_e32 v49, 18, v29
	v_and_b32_e32 v47, 0xffff, v47
	v_sub_nc_u16 v33, v4, v33
	v_lshrrev_b32_e32 v48, 18, v28
	v_mul_u32_u24_e32 v27, 0x4ec5, v27
	v_mul_lo_u16 v35, v49, 13
	v_mul_u32_u24_e32 v47, 0xd0, v47
	v_and_b32_e32 v50, 0xff, v33
	v_mul_lo_u16 v34, v48, 13
	v_lshrrev_b32_e32 v33, 18, v27
	v_sub_nc_u16 v35, v19, v35
	v_mul_u32_u24_e32 v48, 0xd0, v48
	v_mul_u32_u24_e32 v36, 3, v50
	v_sub_nc_u16 v34, v18, v34
	v_mul_lo_u16 v37, v33, 13
	v_and_b32_e32 v52, 0xffff, v35
	v_mul_u32_u24_e32 v49, 0xd0, v49
	v_lshlrev_b32_e32 v36, 2, v36
	v_and_b32_e32 v51, 0xffff, v34
	v_sub_nc_u16 v34, v20, v37
	v_mul_u32_u24_e32 v39, 3, v52
	v_lshlrev_b32_e32 v50, 2, v50
	global_load_b96 v[35:37], v36, s[4:5]
	v_mul_u32_u24_e32 v38, 3, v51
	v_and_b32_e32 v34, 0xffff, v34
	v_lshlrev_b32_e32 v42, 2, v39
	v_lshlrev_b32_e32 v51, 2, v51
	;; [unrolled: 1-line block ×4, first 2 shown]
	v_mul_u32_u24_e32 v41, 3, v34
	v_add3_u32 v47, 0, v47, v50
	v_add3_u32 v48, 0, v48, v51
	;; [unrolled: 1-line block ×3, first 2 shown]
	global_load_b96 v[38:40], v38, s[4:5]
	v_lshlrev_b32_e32 v44, 2, v41
	v_lshrrev_b32_e32 v56, 16, v12
	s_clause 0x1
	global_load_b96 v[41:43], v42, s[4:5]
	global_load_b96 v[44:46], v44, s[4:5]
	v_lshrrev_b32_e32 v63, 16, v14
	v_lshrrev_b32_e32 v64, 16, v9
	;; [unrolled: 1-line block ×5, first 2 shown]
	global_wb scope:SCOPE_SE
	s_wait_loadcnt 0x0
	s_barrier_signal -1
	s_barrier_wait -1
	global_inv scope:SCOPE_SE
	v_lshrrev_b32_e32 v50, 16, v35
	v_lshrrev_b32_e32 v51, 16, v36
	;; [unrolled: 1-line block ×3, first 2 shown]
	s_delay_alu instid0(VALU_DEP_3) | instskip(SKIP_1) | instid1(VALU_DEP_4)
	v_mul_f16_e32 v65, v50, v57
	v_mul_f16_e32 v50, v50, v8
	;; [unrolled: 1-line block ×6, first 2 shown]
	v_lshrrev_b32_e32 v68, 16, v38
	v_lshrrev_b32_e32 v69, 16, v39
	v_lshrrev_b32_e32 v70, 16, v40
	v_fmac_f16_e32 v65, v35, v8
	v_lshrrev_b32_e32 v71, 16, v41
	v_lshrrev_b32_e32 v72, 16, v42
	;; [unrolled: 1-line block ×6, first 2 shown]
	v_fma_f16 v8, v35, v57, -v50
	v_fmac_f16_e32 v66, v36, v15
	v_fma_f16 v15, v36, v58, -v51
	v_fmac_f16_e32 v67, v37, v10
	v_fma_f16 v10, v37, v59, -v52
	v_mul_f16_e32 v35, v68, v60
	v_mul_f16_e32 v36, v68, v13
	;; [unrolled: 1-line block ×18, first 2 shown]
	v_fmac_f16_e32 v35, v38, v13
	v_fma_f16 v13, v38, v60, -v36
	v_fmac_f16_e32 v37, v39, v16
	v_fma_f16 v16, v39, v61, -v50
	;; [unrolled: 2-line block ×8, first 2 shown]
	v_fmac_f16_e32 v75, v31, v46
	v_sub_f16_e32 v30, v5, v66
	v_sub_f16_e32 v15, v53, v15
	;; [unrolled: 1-line block ×4, first 2 shown]
	v_fma_f16 v26, v26, v46, -v76
	v_sub_f16_e32 v37, v6, v37
	v_sub_f16_e32 v16, v54, v16
	;; [unrolled: 1-line block ×8, first 2 shown]
	v_fma_f16 v32, v5, 2.0, -v30
	v_fma_f16 v36, v53, 2.0, -v15
	;; [unrolled: 1-line block ×4, first 2 shown]
	v_sub_f16_e32 v41, v21, v73
	v_sub_f16_e32 v42, v23, v25
	;; [unrolled: 1-line block ×4, first 2 shown]
	v_add_f16_e32 v10, v30, v10
	v_sub_f16_e32 v31, v15, v31
	v_fma_f16 v44, v6, 2.0, -v37
	v_fma_f16 v45, v54, 2.0, -v16
	;; [unrolled: 1-line block ×8, first 2 shown]
	v_sub_f16_e32 v43, v32, v5
	v_sub_f16_e32 v8, v36, v8
	v_fma_f16 v51, v21, 2.0, -v41
	v_fma_f16 v52, v23, 2.0, -v42
	;; [unrolled: 1-line block ×6, first 2 shown]
	v_add_f16_e32 v11, v37, v11
	v_sub_f16_e32 v38, v16, v38
	v_sub_f16_e32 v35, v44, v35
	;; [unrolled: 1-line block ×3, first 2 shown]
	v_add_f16_e32 v12, v39, v12
	v_sub_f16_e32 v40, v9, v40
	v_sub_f16_e32 v50, v7, v50
	;; [unrolled: 1-line block ×3, first 2 shown]
	v_add_f16_e32 v5, v41, v26
	v_sub_f16_e32 v6, v42, v25
	v_pack_b32_f16 v10, v10, v31
	v_fma_f16 v31, v32, 2.0, -v43
	v_fma_f16 v32, v36, 2.0, -v8
	v_sub_f16_e32 v23, v51, v21
	v_sub_f16_e32 v25, v52, v24
	v_pack_b32_f16 v8, v43, v8
	v_fma_f16 v36, v37, 2.0, -v11
	v_fma_f16 v37, v16, 2.0, -v38
	v_pack_b32_f16 v15, v30, v15
	v_pack_b32_f16 v11, v11, v38
	v_fma_f16 v30, v44, 2.0, -v35
	v_fma_f16 v38, v45, 2.0, -v13
	;; [unrolled: 1-line block ×4, first 2 shown]
	v_pack_b32_f16 v12, v12, v40
	v_fma_f16 v7, v7, 2.0, -v50
	v_fma_f16 v40, v46, 2.0, -v14
	v_fma_f16 v21, v41, 2.0, -v5
	v_fma_f16 v26, v42, 2.0, -v6
	v_fma_f16 v16, v51, 2.0, -v23
	v_fma_f16 v24, v52, 2.0, -v25
	v_pack_b32_f16 v31, v31, v32
	ds_store_2addr_b32 v47, v8, v10 offset0:26 offset1:39
	v_pack_b32_f16 v10, v35, v13
	v_pack_b32_f16 v8, v36, v37
	;; [unrolled: 1-line block ×6, first 2 shown]
	ds_store_2addr_b32 v47, v31, v15 offset1:13
	ds_store_2addr_b32 v48, v10, v11 offset0:26 offset1:39
	ds_store_2addr_b32 v48, v13, v8 offset1:13
	ds_store_2addr_b32 v49, v7, v9 offset1:13
	ds_store_2addr_b32 v49, v14, v12 offset0:26 offset1:39
	s_and_saveexec_b32 s1, s0
	s_cbranch_execz .LBB0_15
; %bb.14:
	v_mul_lo_u16 v7, v33, 52
	v_lshlrev_b32_e32 v8, 2, v34
	v_perm_b32 v9, v24, v16, 0x5040100
	v_perm_b32 v10, v26, v21, 0x5040100
	;; [unrolled: 1-line block ×3, first 2 shown]
	v_and_b32_e32 v7, 0xffff, v7
	v_perm_b32 v5, v6, v5, 0x5040100
	s_delay_alu instid0(VALU_DEP_2) | instskip(NEXT) | instid1(VALU_DEP_1)
	v_lshlrev_b32_e32 v7, 2, v7
	v_add3_u32 v7, 0, v8, v7
	ds_store_2addr_b32 v7, v9, v10 offset1:13
	ds_store_2addr_b32 v7, v11, v5 offset0:26 offset1:39
.LBB0_15:
	s_wait_alu 0xfffe
	s_or_b32 exec_lo, exec_lo, s1
	v_add_nc_u32_e32 v7, 0xa00, v17
	v_add_nc_u32_e32 v8, 0x1400, v17
	;; [unrolled: 1-line block ×4, first 2 shown]
	v_lshl_add_u32 v15, v4, 2, 0
	global_wb scope:SCOPE_SE
	s_wait_dscnt 0x0
	s_barrier_signal -1
	s_barrier_wait -1
	global_inv scope:SCOPE_SE
	ds_load_2addr_b32 v[5:6], v17 offset1:156
	ds_load_2addr_b32 v[11:12], v7 offset0:36 offset1:192
	ds_load_2addr_b32 v[13:14], v8 offset0:72 offset1:228
	ds_load_2addr_b32 v[9:10], v9 offset0:92 offset1:248
	ds_load_2addr_b32 v[7:8], v30 offset1:156
	ds_load_b32 v31, v17 offset:1248
	ds_load_b32 v30, v15 offset:1872
	v_cmp_gt_u32_e64 s0, 52, v4
	s_delay_alu instid0(VALU_DEP_1)
	s_and_saveexec_b32 s1, s0
	s_cbranch_execz .LBB0_17
; %bb.16:
	ds_load_b32 v16, v15 offset:2496
	ds_load_b32 v21, v17 offset:5200
	;; [unrolled: 1-line block ×3, first 2 shown]
	s_wait_dscnt 0x2
	v_lshrrev_b32_e32 v24, 16, v16
	s_wait_dscnt 0x1
	v_lshrrev_b32_e32 v26, 16, v21
	;; [unrolled: 2-line block ×3, first 2 shown]
.LBB0_17:
	s_wait_alu 0xfffe
	s_or_b32 exec_lo, exec_lo, s1
	v_lshrrev_b16 v22, 12, v22
	v_lshrrev_b32_e32 v36, 20, v28
	v_lshrrev_b32_e32 v29, 20, v29
	;; [unrolled: 1-line block ×3, first 2 shown]
	s_wait_dscnt 0x5
	v_lshrrev_b32_e32 v46, 16, v11
	v_mul_lo_u16 v28, v22, 52
	v_mul_lo_u16 v27, v36, 52
	;; [unrolled: 1-line block ×4, first 2 shown]
	v_and_b32_e32 v22, 0xffff, v22
	v_sub_nc_u16 v28, v4, v28
	v_sub_nc_u16 v18, v18, v27
	;; [unrolled: 1-line block ×4, first 2 shown]
	v_mul_u32_u24_e32 v37, 0x270, v37
	v_and_b32_e32 v38, 0xff, v28
	v_and_b32_e32 v39, 0xffff, v18
	;; [unrolled: 1-line block ×4, first 2 shown]
	v_mul_u32_u24_e32 v22, 0x270, v22
	v_lshlrev_b32_e32 v18, 3, v38
	v_lshlrev_b32_e32 v27, 3, v39
	v_lshlrev_b32_e32 v32, 3, v40
	v_lshlrev_b32_e32 v34, 3, v20
	v_lshlrev_b32_e32 v38, 2, v38
	s_clause 0x3
	global_load_b64 v[18:19], v18, s[4:5] offset:156
	global_load_b64 v[27:28], v27, s[4:5] offset:156
	;; [unrolled: 1-line block ×4, first 2 shown]
	v_lshlrev_b32_e32 v20, 2, v20
	v_mul_u32_u24_e32 v36, 0x270, v36
	v_mul_u32_u24_e32 v29, 0x270, v29
	v_lshlrev_b32_e32 v39, 2, v39
	v_lshlrev_b32_e32 v40, 2, v40
	s_wait_dscnt 0x4
	v_lshrrev_b32_e32 v47, 16, v13
	v_add3_u32 v22, 0, v22, v38
	v_add3_u32 v20, 0, v37, v20
	v_lshrrev_b32_e32 v48, 16, v12
	v_lshrrev_b32_e32 v49, 16, v14
	v_add3_u32 v36, 0, v36, v39
	v_add3_u32 v29, 0, v29, v40
	s_wait_dscnt 0x3
	v_lshrrev_b32_e32 v50, 16, v9
	s_wait_dscnt 0x2
	v_lshrrev_b32_e32 v51, 16, v7
	v_lshrrev_b32_e32 v45, 16, v8
	;; [unrolled: 1-line block ×5, first 2 shown]
	s_wait_dscnt 0x1
	v_lshrrev_b32_e32 v43, 16, v31
	s_wait_dscnt 0x0
	v_lshrrev_b32_e32 v44, 16, v30
	global_wb scope:SCOPE_SE
	s_wait_loadcnt 0x0
	s_barrier_signal -1
	s_barrier_wait -1
	global_inv scope:SCOPE_SE
	v_lshrrev_b32_e32 v39, 16, v27
	v_lshrrev_b32_e32 v37, 16, v18
	;; [unrolled: 1-line block ×8, first 2 shown]
	v_mul_f16_e32 v57, v37, v46
	v_mul_f16_e32 v37, v37, v11
	;; [unrolled: 1-line block ×16, first 2 shown]
	v_fmac_f16_e32 v57, v18, v11
	v_fma_f16 v11, v18, v46, -v37
	v_fmac_f16_e32 v58, v19, v13
	v_fma_f16 v13, v19, v47, -v38
	;; [unrolled: 2-line block ×8, first 2 shown]
	v_add_f16_e32 v19, v57, v58
	v_sub_f16_e32 v27, v11, v13
	v_add_f16_e32 v28, v41, v11
	v_add_f16_e32 v11, v11, v13
	v_add_f16_e32 v34, v59, v60
	v_sub_f16_e32 v35, v12, v14
	v_add_f16_e32 v37, v42, v12
	v_add_f16_e32 v12, v12, v14
	;; [unrolled: 4-line block ×4, first 2 shown]
	v_sub_f16_e32 v50, v10, v8
	v_add_f16_e32 v51, v44, v10
	v_add_f16_e32 v10, v10, v8
	v_fma_f16 v5, -0.5, v19, v5
	v_fmac_f16_e32 v41, -0.5, v11
	v_add_f16_e32 v33, v6, v59
	v_sub_f16_e32 v38, v59, v60
	v_fmac_f16_e32 v6, -0.5, v34
	v_fmac_f16_e32 v42, -0.5, v12
	v_add_f16_e32 v39, v31, v61
	v_sub_f16_e32 v47, v61, v62
	v_fmac_f16_e32 v31, -0.5, v40
	v_fmac_f16_e32 v43, -0.5, v9
	v_sub_f16_e32 v52, v63, v64
	v_add_f16_e32 v18, v18, v58
	v_add_f16_e32 v13, v28, v13
	;; [unrolled: 1-line block ×3, first 2 shown]
	v_fmac_f16_e32 v30, -0.5, v49
	v_add_f16_e32 v8, v51, v8
	v_fmac_f16_e32 v44, -0.5, v10
	v_fmamk_f16 v10, v27, 0xbaee, v5
	v_fmamk_f16 v19, v32, 0x3aee, v41
	v_fmac_f16_e32 v5, 0x3aee, v27
	v_fmac_f16_e32 v41, 0xbaee, v32
	v_add_f16_e32 v11, v33, v60
	v_add_f16_e32 v14, v37, v14
	v_fmamk_f16 v27, v35, 0xbaee, v6
	v_fmamk_f16 v28, v38, 0x3aee, v42
	v_fmac_f16_e32 v6, 0x3aee, v35
	v_fmac_f16_e32 v42, 0xbaee, v38
	v_add_f16_e32 v12, v39, v62
	v_add_f16_e32 v7, v46, v7
	v_fmamk_f16 v32, v45, 0xbaee, v31
	v_fmamk_f16 v33, v47, 0x3aee, v43
	v_fmac_f16_e32 v31, 0x3aee, v45
	v_fmac_f16_e32 v43, 0xbaee, v47
	v_fmamk_f16 v34, v50, 0xbaee, v30
	v_fmac_f16_e32 v30, 0x3aee, v50
	v_fmamk_f16 v35, v52, 0x3aee, v44
	v_fmac_f16_e32 v44, 0xbaee, v52
	v_pack_b32_f16 v13, v18, v13
	v_pack_b32_f16 v8, v9, v8
	v_pack_b32_f16 v9, v10, v19
	v_pack_b32_f16 v5, v5, v41
	v_pack_b32_f16 v11, v11, v14
	v_pack_b32_f16 v10, v27, v28
	v_pack_b32_f16 v6, v6, v42
	v_pack_b32_f16 v7, v12, v7
	v_pack_b32_f16 v12, v32, v33
	v_pack_b32_f16 v14, v31, v43
	v_pack_b32_f16 v18, v34, v35
	v_pack_b32_f16 v19, v30, v44
	ds_store_2addr_b32 v22, v13, v9 offset1:52
	ds_store_b32 v22, v5 offset:416
	ds_store_2addr_b32 v36, v11, v10 offset1:52
	ds_store_b32 v36, v6 offset:416
	;; [unrolled: 2-line block ×4, first 2 shown]
	s_and_saveexec_b32 s1, s0
	s_cbranch_execz .LBB0_19
; %bb.18:
	v_add_nc_u32_e32 v5, 0x270, v4
	s_delay_alu instid0(VALU_DEP_1) | instskip(NEXT) | instid1(VALU_DEP_1)
	v_and_b32_e32 v6, 0xffff, v5
	v_mul_u32_u24_e32 v6, 0x4ec5, v6
	s_delay_alu instid0(VALU_DEP_1) | instskip(NEXT) | instid1(VALU_DEP_1)
	v_lshrrev_b32_e32 v6, 20, v6
	v_mul_lo_u16 v6, v6, 52
	s_delay_alu instid0(VALU_DEP_1) | instskip(NEXT) | instid1(VALU_DEP_1)
	v_sub_nc_u16 v5, v5, v6
	v_and_b32_e32 v7, 0xffff, v5
	s_delay_alu instid0(VALU_DEP_1)
	v_lshlrev_b32_e32 v5, 3, v7
	v_lshl_add_u32 v7, v7, 2, 0
	global_load_b64 v[5:6], v5, s[4:5] offset:156
	s_wait_loadcnt 0x0
	v_lshrrev_b32_e32 v8, 16, v5
	v_lshrrev_b32_e32 v9, 16, v6
	s_delay_alu instid0(VALU_DEP_2) | instskip(NEXT) | instid1(VALU_DEP_2)
	v_mul_f16_e32 v10, v21, v8
	v_mul_f16_e32 v11, v23, v9
	;; [unrolled: 1-line block ×4, first 2 shown]
	s_delay_alu instid0(VALU_DEP_4) | instskip(NEXT) | instid1(VALU_DEP_4)
	v_fma_f16 v10, v26, v5, -v10
	v_fma_f16 v11, v25, v6, -v11
	s_delay_alu instid0(VALU_DEP_4) | instskip(NEXT) | instid1(VALU_DEP_4)
	v_fmac_f16_e32 v8, v21, v5
	v_fmac_f16_e32 v9, v23, v6
	s_delay_alu instid0(VALU_DEP_3) | instskip(SKIP_1) | instid1(VALU_DEP_3)
	v_add_f16_e32 v5, v10, v11
	v_sub_f16_e32 v13, v10, v11
	v_add_f16_e32 v12, v8, v9
	v_sub_f16_e32 v6, v8, v9
	v_add_f16_e32 v10, v24, v10
	v_add_f16_e32 v8, v16, v8
	v_fma_f16 v5, -0.5, v5, v24
	v_fma_f16 v12, -0.5, v12, v16
	s_delay_alu instid0(VALU_DEP_4) | instskip(NEXT) | instid1(VALU_DEP_4)
	v_add_f16_e32 v10, v10, v11
	v_add_f16_e32 v8, v8, v9
	s_delay_alu instid0(VALU_DEP_4) | instskip(NEXT) | instid1(VALU_DEP_4)
	v_fmamk_f16 v9, v6, 0xbaee, v5
	v_fmamk_f16 v11, v13, 0x3aee, v12
	v_fmac_f16_e32 v5, 0x3aee, v6
	v_fmac_f16_e32 v12, 0xbaee, v13
	v_add_nc_u32_e32 v6, 0x1c00, v7
	v_pack_b32_f16 v8, v8, v10
	v_pack_b32_f16 v9, v11, v9
	s_delay_alu instid0(VALU_DEP_4)
	v_pack_b32_f16 v5, v12, v5
	ds_store_2addr_b32 v6, v8, v5 offset0:80 offset1:132
	ds_store_b32 v7, v9 offset:7904
.LBB0_19:
	s_wait_alu 0xfffe
	s_or_b32 exec_lo, exec_lo, s1
	global_wb scope:SCOPE_SE
	s_wait_dscnt 0x0
	s_barrier_signal -1
	s_barrier_wait -1
	global_inv scope:SCOPE_SE
	s_and_saveexec_b32 s0, vcc_lo
	s_cbranch_execz .LBB0_21
; %bb.20:
	v_mul_u32_u24_e32 v4, 12, v4
	v_add_nc_u32_e32 v6, 0x1a00, v17
	v_add_nc_u32_e32 v7, 0x600, v15
	;; [unrolled: 1-line block ×4, first 2 shown]
	v_lshlrev_b32_e32 v4, 2, v4
	v_lshlrev_b64_e32 v[2:3], 2, v[2:3]
	v_add_co_u32 v0, vcc_lo, s8, v0
	s_wait_alu 0xfffd
	v_add_co_ci_u32_e32 v1, vcc_lo, s9, v1, vcc_lo
	s_clause 0x2
	global_load_b128 v[23:26], v4, s[4:5] offset:572
	global_load_b128 v[30:33], v4, s[4:5] offset:604
	;; [unrolled: 1-line block ×3, first 2 shown]
	ds_load_2addr_b32 v[4:5], v17 offset1:156
	ds_load_2addr_b32 v[27:28], v6 offset0:52 offset1:208
	v_add_nc_u32_e32 v6, 0x1000, v17
	ds_load_b32 v11, v17 offset:1248
	ds_load_2addr_b32 v[38:39], v7 offset0:84 offset1:240
	ds_load_2addr_b32 v[40:41], v8 offset0:60 offset1:216
	ds_load_2addr_b32 v[42:43], v9 offset0:12 offset1:168
	ds_load_2addr_b32 v[44:45], v6 offset0:68 offset1:224
	v_add_co_u32 v0, vcc_lo, v0, v2
	s_wait_alu 0xfffd
	v_add_co_ci_u32_e32 v1, vcc_lo, v1, v3, vcc_lo
	s_wait_dscnt 0x6
	v_lshrrev_b32_e32 v13, 16, v5
	s_wait_dscnt 0x5
	v_lshrrev_b32_e32 v20, 16, v28
	v_lshrrev_b32_e32 v46, 16, v27
	s_wait_dscnt 0x4
	v_lshrrev_b32_e32 v18, 16, v11
	s_wait_dscnt 0x1
	v_lshrrev_b32_e32 v51, 16, v42
	v_lshrrev_b32_e32 v47, 16, v38
	;; [unrolled: 1-line block ×5, first 2 shown]
	s_wait_dscnt 0x0
	v_lshrrev_b32_e32 v54, 16, v44
	v_lshrrev_b32_e32 v49, 16, v39
	;; [unrolled: 1-line block ×4, first 2 shown]
	s_wait_loadcnt 0x2
	v_lshrrev_b32_e32 v8, 16, v23
	s_wait_loadcnt 0x1
	v_lshrrev_b32_e32 v17, 16, v33
	v_lshrrev_b32_e32 v9, 16, v24
	;; [unrolled: 1-line block ×3, first 2 shown]
	s_wait_loadcnt 0x0
	v_lshrrev_b32_e32 v29, 16, v34
	v_mul_f16_e32 v22, v8, v13
	v_mul_f16_e32 v7, v17, v20
	v_lshrrev_b32_e32 v10, 16, v25
	v_lshrrev_b32_e32 v14, 16, v30
	;; [unrolled: 1-line block ×5, first 2 shown]
	v_mul_f16_e32 v58, v28, v17
	v_mul_f16_e32 v59, v8, v5
	;; [unrolled: 1-line block ×6, first 2 shown]
	v_fmac_f16_e32 v22, v23, v5
	v_fmac_f16_e32 v7, v33, v28
	v_lshrrev_b32_e32 v12, 16, v26
	v_lshrrev_b32_e32 v57, 16, v37
	v_mul_f16_e32 v61, v9, v11
	v_mul_f16_e32 v19, v10, v47
	;; [unrolled: 1-line block ×10, first 2 shown]
	v_fma_f16 v5, v33, v20, -v58
	v_fma_f16 v29, v23, v13, -v59
	v_fmac_f16_e32 v21, v24, v11
	v_fmac_f16_e32 v8, v32, v27
	;; [unrolled: 1-line block ×3, first 2 shown]
	v_sub_f16_e32 v42, v22, v7
	v_mul_f16_e32 v17, v12, v49
	v_mul_f16_e32 v65, v12, v39
	;; [unrolled: 1-line block ×5, first 2 shown]
	v_fma_f16 v11, v32, v46, -v60
	v_fma_f16 v28, v24, v18, -v61
	v_fmac_f16_e32 v15, v35, v43
	v_fmac_f16_e32 v14, v36, v44
	v_add_f16_e32 v33, v29, v5
	v_sub_f16_e32 v43, v21, v8
	v_sub_f16_e32 v44, v29, v5
	v_mul_f16_e32 v60, 0xba95, v42
	v_mul_f16_e32 v57, v45, v57
	v_fma_f16 v27, v25, v47, -v63
	v_fmac_f16_e32 v12, v37, v45
	v_fma_f16 v23, v36, v54, -v56
	v_add_f16_e32 v32, v28, v11
	v_add_f16_e32 v36, v22, v7
	v_sub_f16_e32 v45, v28, v11
	v_mul_f16_e32 v61, 0xbb7b, v43
	v_mul_f16_e32 v63, 0xba95, v44
	v_fmamk_f16 v105, v33, 0x388b, v60
	v_fmac_f16_e32 v19, v25, v38
	v_fmac_f16_e32 v9, v31, v41
	v_fma_f16 v18, v30, v50, -v64
	v_fma_f16 v24, v35, v53, -v55
	v_add_f16_e32 v35, v21, v8
	v_mul_f16_e32 v54, 0xb770, v42
	v_mul_f16_e32 v64, 0xbb7b, v45
	;; [unrolled: 1-line block ×3, first 2 shown]
	v_fmamk_f16 v106, v32, 0xb5ac, v61
	v_fma_f16 v107, v36, 0x388b, -v63
	v_add_f16_e32 v105, v105, v6
	v_fma_f16 v13, v31, v48, -v62
	v_sub_f16_e32 v41, v19, v9
	v_mul_f16_e32 v55, 0xba95, v43
	v_mul_f16_e32 v72, 0xbb7b, v42
	;; [unrolled: 1-line block ×3, first 2 shown]
	v_fmamk_f16 v101, v33, 0x3b15, v54
	v_fma_f16 v108, v35, 0xb5ac, -v64
	v_add_f16_e32 v107, v107, v4
	v_add_f16_e32 v105, v105, v106
	v_fmamk_f16 v106, v33, 0xb9fd, v77
	v_fma_f16 v77, v33, 0xb9fd, -v77
	v_fma_f16 v25, v34, v51, -v66
	v_add_f16_e32 v31, v27, v13
	v_sub_f16_e32 v46, v27, v13
	v_mul_f16_e32 v56, 0xbbf1, v41
	v_mul_f16_e32 v66, 0xbbf1, v42
	;; [unrolled: 1-line block ×4, first 2 shown]
	v_fmamk_f16 v102, v32, 0x388b, v55
	v_add_f16_e32 v101, v101, v6
	v_fmamk_f16 v113, v33, 0xb5ac, v72
	v_add_f16_e32 v107, v107, v108
	v_fmamk_f16 v108, v32, 0x2fb7, v78
	v_fma_f16 v78, v32, 0x2fb7, -v78
	v_fma_f16 v72, v33, 0xb5ac, -v72
	v_add_f16_e32 v77, v77, v6
	v_fmac_f16_e32 v17, v26, v39
	v_fmac_f16_e32 v10, v30, v40
	v_fma_f16 v26, v26, v49, -v65
	v_add_f16_e32 v34, v19, v9
	v_mul_f16_e32 v62, 0xb3a8, v41
	v_mul_f16_e32 v65, 0xb3a8, v46
	;; [unrolled: 1-line block ×4, first 2 shown]
	v_fmamk_f16 v109, v33, 0x2fb7, v66
	v_fma_f16 v111, v36, 0x2fb7, -v69
	v_fmamk_f16 v114, v32, 0xb9fd, v73
	v_add_f16_e32 v101, v101, v102
	v_fma_f16 v73, v32, 0xb9fd, -v73
	v_add_f16_e32 v72, v72, v6
	v_add_f16_e32 v77, v77, v78
	v_fmamk_f16 v78, v31, 0x2fb7, v56
	v_fma_f16 v20, v37, v52, -v57
	v_sub_f16_e32 v40, v17, v10
	v_mul_f16_e32 v57, 0xb770, v44
	v_mul_f16_e32 v71, 0x3b7b, v46
	;; [unrolled: 1-line block ×4, first 2 shown]
	v_fmamk_f16 v110, v32, 0xbbc4, v67
	v_fma_f16 v112, v35, 0xbbc4, -v70
	v_add_f16_e32 v109, v109, v6
	v_add_f16_e32 v111, v111, v4
	;; [unrolled: 1-line block ×3, first 2 shown]
	v_fmamk_f16 v73, v31, 0xbbc4, v62
	v_add_f16_e32 v78, v101, v78
	v_fma_f16 v101, v34, 0xbbc4, -v65
	v_add_f16_e32 v30, v26, v18
	v_sub_f16_e32 v49, v26, v18
	v_mul_f16_e32 v58, 0xba95, v45
	v_mul_f16_e32 v80, 0x3bf1, v45
	;; [unrolled: 1-line block ×4, first 2 shown]
	v_fma_f16 v103, v36, 0x3b15, -v57
	v_add_f16_e32 v109, v109, v110
	v_fma_f16 v110, v36, 0xb9fd, -v79
	v_add_f16_e32 v113, v113, v6
	v_add_f16_e32 v111, v111, v112
	v_fmac_f16_e32 v79, 0xb9fd, v36
	v_add_f16_e32 v73, v105, v73
	v_fma_f16 v105, v34, 0xb5ac, -v71
	v_add_f16_e32 v101, v107, v101
	v_fmamk_f16 v107, v31, 0x3b15, v74
	v_fma_f16 v74, v31, 0x3b15, -v74
	v_add_f16_e32 v37, v17, v10
	v_mul_f16_e32 v59, 0xbbf1, v46
	v_mul_f16_e32 v75, 0xbb7b, v44
	;; [unrolled: 1-line block ×5, first 2 shown]
	v_fma_f16 v104, v35, 0x388b, -v58
	v_add_f16_e32 v103, v103, v4
	v_add_f16_e32 v113, v113, v114
	v_fma_f16 v114, v35, 0x2fb7, -v80
	v_fmac_f16_e32 v80, 0x2fb7, v35
	v_add_f16_e32 v79, v79, v4
	v_add_f16_e32 v105, v111, v105
	v_fmamk_f16 v111, v31, 0x388b, v82
	v_fma_f16 v82, v31, 0x388b, -v82
	v_add_f16_e32 v72, v72, v74
	v_fmamk_f16 v74, v30, 0xb9fd, v86
	v_sub_f16_e32 v51, v25, v20
	v_mul_f16_e32 v68, 0x3b7b, v41
	v_mul_f16_e32 v76, 0x394e, v45
	;; [unrolled: 1-line block ×6, first 2 shown]
	v_fma_f16 v102, v36, 0xb5ac, -v75
	v_add_f16_e32 v103, v103, v104
	v_add_f16_e32 v79, v79, v80
	v_fma_f16 v80, v34, 0x2fb7, -v59
	v_add_f16_e32 v107, v113, v107
	v_fma_f16 v113, v34, 0x388b, -v83
	v_fmac_f16_e32 v83, 0x388b, v34
	v_add_f16_e32 v77, v77, v82
	v_fmamk_f16 v82, v30, 0xb5ac, v84
	v_add_f16_e32 v73, v73, v74
	v_fma_f16 v74, v37, 0x3b15, -v89
	v_add_f16_e32 v39, v16, v12
	v_mul_f16_e32 v43, 0x3770, v43
	v_mul_f16_e32 v81, 0x3770, v46
	;; [unrolled: 1-line block ×5, first 2 shown]
	v_fma_f16 v104, v35, 0xb9fd, -v76
	v_add_f16_e32 v102, v102, v4
	v_fmamk_f16 v112, v33, 0xbbc4, v42
	v_add_f16_e32 v110, v110, v4
	v_fma_f16 v42, v33, 0xbbc4, -v42
	v_add_f16_e32 v80, v103, v80
	v_fmamk_f16 v103, v31, 0xb5ac, v68
	v_add_f16_e32 v79, v79, v83
	v_fma_f16 v83, v37, 0xb5ac, -v85
	v_add_f16_e32 v78, v78, v82
	v_fma_f16 v82, v37, 0xb9fd, -v87
	v_add_f16_e32 v74, v105, v74
	v_fmamk_f16 v105, v30, 0xbbc4, v92
	v_fma_f16 v92, v30, 0xbbc4, -v92
	v_mul_f16_e32 v41, 0xb94e, v41
	v_mul_f16_e32 v91, 0xbbf1, v49
	;; [unrolled: 1-line block ×4, first 2 shown]
	v_add_f16_e32 v102, v102, v104
	v_fmamk_f16 v104, v32, 0x3b15, v43
	v_add_f16_e32 v110, v110, v114
	v_fma_f16 v43, v32, 0x3b15, -v43
	v_add_f16_e32 v42, v42, v6
	v_add_f16_e32 v103, v109, v103
	v_fma_f16 v109, v34, 0x3b15, -v81
	v_add_f16_e32 v80, v80, v83
	v_fmamk_f16 v83, v30, 0x3b15, v88
	v_add_f16_e32 v82, v101, v82
	v_fmamk_f16 v101, v30, 0x2fb7, v90
	v_add_f16_e32 v77, v77, v92
	v_fma_f16 v92, v39, 0xb9fd, -v95
	v_sub_f16_e32 v53, v24, v23
	v_mul_f16_e32 v40, 0x3a95, v40
	v_add_f16_e32 v42, v42, v43
	v_mul_f16_e32 v43, 0x3770, v51
	v_add_f16_e32 v102, v102, v109
	v_fmamk_f16 v109, v31, 0xb9fd, v41
	v_add_f16_e32 v110, v110, v113
	v_fma_f16 v41, v31, 0xb9fd, -v41
	v_add_f16_e32 v83, v103, v83
	v_fma_f16 v103, v37, 0x2fb7, -v91
	;; [unrolled: 2-line block ×4, first 2 shown]
	v_add_f16_e32 v22, v22, v4
	v_add_f16_e32 v48, v15, v14
	v_mul_f16_e32 v113, 0xb3a8, v53
	v_add_f16_e32 v41, v42, v41
	v_add_f16_e32 v102, v102, v103
	v_fmamk_f16 v103, v30, 0x388b, v40
	v_add_f16_e32 v107, v110, v107
	v_fma_f16 v40, v30, 0x388b, -v40
	v_fmac_f16_e32 v93, 0xbbc4, v37
	v_add_f16_e32 v74, v74, v92
	v_fma_f16 v92, v39, 0x3b15, -v43
	v_add_f16_e32 v21, v22, v21
	v_add_f16_e32 v22, v29, v6
	;; [unrolled: 1-line block ×3, first 2 shown]
	v_mul_f16_e32 v41, 0xbb7b, v53
	v_add_f16_e32 v79, v79, v93
	v_fmac_f16_e32 v43, 0x3b15, v39
	v_add_f16_e32 v92, v107, v92
	v_fma_f16 v107, v48, 0xbbc4, -v113
	v_sub_f16_e32 v50, v16, v12
	v_mul_f16_e32 v44, 0xb3a8, v44
	v_add_f16_e32 v106, v106, v6
	v_add_f16_e32 v19, v21, v19
	;; [unrolled: 1-line block ×5, first 2 shown]
	v_fma_f16 v107, v48, 0xb5ac, -v41
	v_fmac_f16_e32 v41, 0xb5ac, v48
	v_add_f16_e32 v38, v25, v20
	v_mul_f16_e32 v45, 0x3770, v45
	v_mul_f16_e32 v96, 0x3bf1, v50
	v_add_f16_e32 v106, v106, v108
	v_fma_f16 v108, v36, 0xbbc4, -v44
	v_add_f16_e32 v112, v112, v6
	v_add_f16_e32 v17, v19, v17
	;; [unrolled: 1-line block ×4, first 2 shown]
	v_fma_f16 v43, v33, 0x2fb7, -v66
	v_mul_f16_e32 v46, 0xb94e, v46
	v_mul_f16_e32 v100, 0x33a8, v50
	v_fma_f16 v114, v35, 0x3b15, -v45
	v_add_f16_e32 v108, v108, v4
	v_add_f16_e32 v104, v112, v104
	v_fmamk_f16 v93, v38, 0x2fb7, v96
	v_fmac_f16_e32 v44, 0xbbc4, v36
	v_add_f16_e32 v16, v17, v16
	v_add_f16_e32 v17, v19, v26
	;; [unrolled: 1-line block ×3, first 2 shown]
	v_fma_f16 v67, v32, 0xbbc4, -v67
	v_fmac_f16_e32 v69, 0x2fb7, v36
	v_sub_f16_e32 v52, v15, v14
	v_mul_f16_e32 v49, 0x3a95, v49
	v_mul_f16_e32 v94, 0xb94e, v50
	;; [unrolled: 1-line block ×3, first 2 shown]
	v_add_f16_e32 v108, v108, v114
	v_mul_f16_e32 v114, 0x3770, v50
	v_mul_f16_e32 v50, 0xbb7b, v50
	v_add_f16_e32 v106, v106, v111
	v_fma_f16 v111, v34, 0xb9fd, -v46
	v_add_f16_e32 v104, v104, v109
	v_add_f16_e32 v73, v73, v93
	v_fmamk_f16 v93, v38, 0xbbc4, v100
	v_fmac_f16_e32 v45, 0x3b15, v35
	v_add_f16_e32 v44, v44, v4
	v_add_f16_e32 v15, v16, v15
	;; [unrolled: 1-line block ×4, first 2 shown]
	v_fma_f16 v67, v31, 0xb5ac, -v68
	v_add_f16_e32 v68, v69, v4
	v_fmac_f16_e32 v70, 0xbbc4, v35
	v_add_f16_e32 v47, v24, v23
	v_mul_f16_e32 v109, 0x3770, v52
	v_add_f16_e32 v108, v108, v111
	v_add_f16_e32 v105, v106, v105
	v_fma_f16 v106, v37, 0x388b, -v49
	v_add_f16_e32 v103, v104, v103
	v_add_f16_e32 v93, v101, v93
	v_fmamk_f16 v101, v38, 0xb5ac, v50
	v_add_f16_e32 v44, v44, v45
	v_fmac_f16_e32 v46, 0xb9fd, v34
	v_add_f16_e32 v14, v15, v14
	v_add_f16_e32 v15, v16, v24
	v_fmac_f16_e32 v75, 0xb5ac, v36
	v_fma_f16 v60, v33, 0x388b, -v60
	v_fmac_f16_e32 v63, 0x388b, v36
	v_fma_f16 v28, v33, 0x3b15, -v54
	v_fmac_f16_e32 v57, 0x3b15, v36
	v_add_f16_e32 v43, v43, v67
	v_fma_f16 v67, v30, 0x3b15, -v88
	v_add_f16_e32 v68, v68, v70
	v_fmac_f16_e32 v71, 0xb5ac, v34
	v_mul_f16_e32 v45, 0xb3a8, v52
	v_mul_f16_e32 v42, 0xb94e, v52
	;; [unrolled: 1-line block ×3, first 2 shown]
	v_add_f16_e32 v106, v108, v106
	v_mul_f16_e32 v108, 0xbb7b, v52
	v_mul_f16_e32 v52, 0x3bf1, v52
	v_fma_f16 v50, v38, 0xb5ac, -v50
	v_add_f16_e32 v101, v103, v101
	v_fmamk_f16 v103, v47, 0x3b15, v109
	v_mul_f16_e32 v97, 0x3bf1, v51
	v_add_f16_e32 v44, v44, v46
	v_fmac_f16_e32 v49, 0x388b, v37
	v_fma_f16 v90, v30, 0x2fb7, -v90
	v_add_f16_e32 v12, v12, v14
	v_add_f16_e32 v14, v15, v23
	;; [unrolled: 1-line block ×6, first 2 shown]
	v_fma_f16 v21, v32, 0x388b, -v55
	v_add_f16_e32 v4, v57, v4
	v_fmac_f16_e32 v58, 0x388b, v35
	v_add_f16_e32 v43, v43, v67
	v_fma_f16 v61, v32, 0xb5ac, -v61
	v_fma_f16 v67, v38, 0x388b, -v98
	v_add_f16_e32 v68, v68, v71
	v_fmac_f16_e32 v89, 0x3b15, v37
	v_fmac_f16_e32 v64, 0xb5ac, v35
	v_add_f16_e32 v40, v40, v50
	v_add_f16_e32 v73, v73, v103
	v_fmamk_f16 v103, v47, 0x2fb7, v52
	v_fma_f16 v52, v47, 0x2fb7, -v52
	v_fmac_f16_e32 v76, 0xb9fd, v35
	v_mul_f16_e32 v112, 0x33a8, v51
	v_add_f16_e32 v44, v44, v49
	v_fmamk_f16 v49, v38, 0xb9fd, v94
	v_add_f16_e32 v72, v72, v90
	v_fma_f16 v90, v39, 0x2fb7, -v97
	v_add_f16_e32 v10, v10, v12
	v_add_f16_e32 v12, v20, v14
	;; [unrolled: 1-line block ×3, first 2 shown]
	v_fma_f16 v17, v31, 0x2fb7, -v56
	v_add_f16_e32 v4, v4, v58
	v_fmac_f16_e32 v59, 0x2fb7, v34
	v_fmamk_f16 v50, v47, 0xb9fd, v42
	v_add_f16_e32 v60, v60, v61
	v_fma_f16 v61, v31, 0xbbc4, -v62
	v_add_f16_e32 v43, v43, v67
	v_add_f16_e32 v62, v68, v89
	v_fma_f16 v42, v47, 0xb9fd, -v42
	v_fmac_f16_e32 v99, 0x388b, v39
	v_add_f16_e32 v63, v63, v64
	v_fmac_f16_e32 v65, 0xbbc4, v34
	v_add_f16_e32 v40, v40, v52
	v_add_f16_e32 v52, v75, v76
	v_fmac_f16_e32 v81, 0x3b15, v34
	v_mul_f16_e32 v51, 0xbb7b, v51
	v_add_f16_e32 v49, v78, v49
	v_fmamk_f16 v78, v38, 0x388b, v98
	v_add_f16_e32 v82, v82, v90
	v_fma_f16 v90, v39, 0xbbc4, -v112
	v_add_f16_e32 v9, v9, v10
	v_add_f16_e32 v10, v18, v12
	;; [unrolled: 1-line block ×3, first 2 shown]
	v_fma_f16 v16, v30, 0xb5ac, -v84
	v_add_f16_e32 v4, v4, v59
	v_fmac_f16_e32 v85, 0xb5ac, v37
	v_add_f16_e32 v60, v60, v61
	v_fma_f16 v61, v30, 0xb9fd, -v86
	v_add_f16_e32 v42, v43, v42
	v_add_f16_e32 v43, v62, v99
	;; [unrolled: 1-line block ×3, first 2 shown]
	v_fmac_f16_e32 v87, 0xb9fd, v37
	v_add_f16_e32 v52, v52, v81
	v_fmac_f16_e32 v91, 0x2fb7, v37
	v_mul_f16_e32 v111, 0x3770, v53
	v_add_f16_e32 v78, v83, v78
	v_fmamk_f16 v83, v38, 0x3b15, v114
	v_add_f16_e32 v90, v102, v90
	v_fma_f16 v102, v39, 0xb5ac, -v51
	v_add_f16_e32 v8, v8, v9
	v_add_f16_e32 v9, v13, v10
	;; [unrolled: 1-line block ×3, first 2 shown]
	v_fma_f16 v15, v38, 0xb9fd, -v94
	v_add_f16_e32 v4, v4, v85
	v_fmac_f16_e32 v95, 0xb9fd, v39
	v_mul_f16_e32 v46, 0xb94e, v53
	v_fmac_f16_e32 v51, 0xb5ac, v39
	v_add_f16_e32 v60, v60, v61
	v_fma_f16 v61, v38, 0x2fb7, -v96
	v_add_f16_e32 v62, v62, v87
	v_fmac_f16_e32 v97, 0x2fb7, v39
	v_mul_f16_e32 v104, 0x3a95, v53
	v_fma_f16 v75, v38, 0xbbc4, -v100
	v_add_f16_e32 v52, v52, v91
	v_fmac_f16_e32 v112, 0xbbc4, v39
	v_mul_f16_e32 v53, 0x3bf1, v53
	v_fma_f16 v114, v38, 0x3b15, -v114
	v_add_f16_e32 v83, v105, v83
	v_fmamk_f16 v105, v47, 0xbbc4, v45
	v_add_f16_e32 v102, v106, v102
	v_fma_f16 v106, v48, 0x3b15, -v111
	v_add_f16_e32 v7, v7, v8
	v_add_f16_e32 v8, v11, v9
	;; [unrolled: 1-line block ×3, first 2 shown]
	v_fma_f16 v12, v47, 0xbbc4, -v45
	v_add_f16_e32 v4, v4, v95
	v_fmac_f16_e32 v113, 0xbbc4, v48
	v_add_f16_e32 v44, v44, v51
	v_fma_f16 v51, v48, 0xb9fd, -v46
	v_fmac_f16_e32 v46, 0xb9fd, v48
	v_add_f16_e32 v60, v60, v61
	v_fma_f16 v61, v47, 0x3b15, -v109
	v_add_f16_e32 v22, v62, v97
	v_fmac_f16_e32 v111, 0x3b15, v48
	v_fma_f16 v79, v48, 0x388b, -v104
	v_add_f16_e32 v66, v72, v75
	v_fma_f16 v72, v47, 0x388b, -v110
	v_add_f16_e32 v52, v52, v112
	v_fmac_f16_e32 v104, 0x388b, v48
	v_add_f16_e32 v77, v77, v114
	v_add_f16_e32 v49, v49, v105
	v_fmamk_f16 v105, v47, 0xb5ac, v108
	v_add_f16_e32 v82, v82, v106
	v_fma_f16 v106, v48, 0x2fb7, -v53
	v_fmac_f16_e32 v53, 0x2fb7, v48
	v_fma_f16 v108, v47, 0xb5ac, -v108
	v_add_f16_e32 v5, v5, v8
	v_fmamk_f16 v114, v47, 0x388b, v110
	v_add_f16_e32 v6, v6, v12
	v_add_f16_e32 v4, v4, v113
	v_add_f16_e32 v29, v43, v46
	v_add_f16_e32 v43, v60, v61
	v_add_f16_e32 v10, v22, v111
	v_add_f16_e32 v66, v66, v72
	v_add_f16_e32 v52, v52, v104
	v_add_f16_e32 v50, v78, v50
	v_add_f16_e32 v78, v90, v79
	v_add_f16_e32 v79, v83, v105
	v_add_f16_e32 v83, v92, v107
	v_add_f16_e32 v90, v101, v103
	v_add_f16_e32 v92, v102, v106
	v_add_f16_e32 v44, v44, v53
	v_add_f16_e32 v53, v77, v108
	v_pack_b32_f16 v2, v7, v5
	v_add_f16_e32 v51, v74, v51
	v_add_f16_e32 v74, v93, v114
	v_pack_b32_f16 v3, v4, v6
	v_pack_b32_f16 v4, v10, v43
	;; [unrolled: 1-line block ×7, first 2 shown]
	s_clause 0x7
	global_store_b32 v[0:1], v2, off
	global_store_b32 v[0:1], v3, off offset:624
	global_store_b32 v[0:1], v4, off offset:1248
	;; [unrolled: 1-line block ×7, first 2 shown]
	v_pack_b32_f16 v2, v83, v79
	v_pack_b32_f16 v3, v78, v74
	;; [unrolled: 1-line block ×5, first 2 shown]
	s_clause 0x4
	global_store_b32 v[0:1], v2, off offset:4992
	global_store_b32 v[0:1], v3, off offset:5616
	;; [unrolled: 1-line block ×5, first 2 shown]
.LBB0_21:
	s_nop 0
	s_sendmsg sendmsg(MSG_DEALLOC_VGPRS)
	s_endpgm
	.section	.rodata,"a",@progbits
	.p2align	6, 0x0
	.amdhsa_kernel fft_rtc_back_len2028_factors_13_4_3_13_wgs_156_tpt_156_half_ip_CI_unitstride_sbrr_dirReg
		.amdhsa_group_segment_fixed_size 0
		.amdhsa_private_segment_fixed_size 0
		.amdhsa_kernarg_size 88
		.amdhsa_user_sgpr_count 2
		.amdhsa_user_sgpr_dispatch_ptr 0
		.amdhsa_user_sgpr_queue_ptr 0
		.amdhsa_user_sgpr_kernarg_segment_ptr 1
		.amdhsa_user_sgpr_dispatch_id 0
		.amdhsa_user_sgpr_private_segment_size 0
		.amdhsa_wavefront_size32 1
		.amdhsa_uses_dynamic_stack 0
		.amdhsa_enable_private_segment 0
		.amdhsa_system_sgpr_workgroup_id_x 1
		.amdhsa_system_sgpr_workgroup_id_y 0
		.amdhsa_system_sgpr_workgroup_id_z 0
		.amdhsa_system_sgpr_workgroup_info 0
		.amdhsa_system_vgpr_workitem_id 0
		.amdhsa_next_free_vgpr 115
		.amdhsa_next_free_sgpr 32
		.amdhsa_reserve_vcc 1
		.amdhsa_float_round_mode_32 0
		.amdhsa_float_round_mode_16_64 0
		.amdhsa_float_denorm_mode_32 3
		.amdhsa_float_denorm_mode_16_64 3
		.amdhsa_fp16_overflow 0
		.amdhsa_workgroup_processor_mode 1
		.amdhsa_memory_ordered 1
		.amdhsa_forward_progress 0
		.amdhsa_round_robin_scheduling 0
		.amdhsa_exception_fp_ieee_invalid_op 0
		.amdhsa_exception_fp_denorm_src 0
		.amdhsa_exception_fp_ieee_div_zero 0
		.amdhsa_exception_fp_ieee_overflow 0
		.amdhsa_exception_fp_ieee_underflow 0
		.amdhsa_exception_fp_ieee_inexact 0
		.amdhsa_exception_int_div_zero 0
	.end_amdhsa_kernel
	.text
.Lfunc_end0:
	.size	fft_rtc_back_len2028_factors_13_4_3_13_wgs_156_tpt_156_half_ip_CI_unitstride_sbrr_dirReg, .Lfunc_end0-fft_rtc_back_len2028_factors_13_4_3_13_wgs_156_tpt_156_half_ip_CI_unitstride_sbrr_dirReg
                                        ; -- End function
	.section	.AMDGPU.csdata,"",@progbits
; Kernel info:
; codeLenInByte = 11240
; NumSgprs: 34
; NumVgprs: 115
; ScratchSize: 0
; MemoryBound: 0
; FloatMode: 240
; IeeeMode: 1
; LDSByteSize: 0 bytes/workgroup (compile time only)
; SGPRBlocks: 4
; VGPRBlocks: 14
; NumSGPRsForWavesPerEU: 34
; NumVGPRsForWavesPerEU: 115
; Occupancy: 12
; WaveLimiterHint : 1
; COMPUTE_PGM_RSRC2:SCRATCH_EN: 0
; COMPUTE_PGM_RSRC2:USER_SGPR: 2
; COMPUTE_PGM_RSRC2:TRAP_HANDLER: 0
; COMPUTE_PGM_RSRC2:TGID_X_EN: 1
; COMPUTE_PGM_RSRC2:TGID_Y_EN: 0
; COMPUTE_PGM_RSRC2:TGID_Z_EN: 0
; COMPUTE_PGM_RSRC2:TIDIG_COMP_CNT: 0
	.text
	.p2alignl 7, 3214868480
	.fill 96, 4, 3214868480
	.type	__hip_cuid_37fd9b73d9c4e2f7,@object ; @__hip_cuid_37fd9b73d9c4e2f7
	.section	.bss,"aw",@nobits
	.globl	__hip_cuid_37fd9b73d9c4e2f7
__hip_cuid_37fd9b73d9c4e2f7:
	.byte	0                               ; 0x0
	.size	__hip_cuid_37fd9b73d9c4e2f7, 1

	.ident	"AMD clang version 19.0.0git (https://github.com/RadeonOpenCompute/llvm-project roc-6.4.0 25133 c7fe45cf4b819c5991fe208aaa96edf142730f1d)"
	.section	".note.GNU-stack","",@progbits
	.addrsig
	.addrsig_sym __hip_cuid_37fd9b73d9c4e2f7
	.amdgpu_metadata
---
amdhsa.kernels:
  - .args:
      - .actual_access:  read_only
        .address_space:  global
        .offset:         0
        .size:           8
        .value_kind:     global_buffer
      - .offset:         8
        .size:           8
        .value_kind:     by_value
      - .actual_access:  read_only
        .address_space:  global
        .offset:         16
        .size:           8
        .value_kind:     global_buffer
      - .actual_access:  read_only
        .address_space:  global
        .offset:         24
        .size:           8
        .value_kind:     global_buffer
      - .offset:         32
        .size:           8
        .value_kind:     by_value
      - .actual_access:  read_only
        .address_space:  global
        .offset:         40
        .size:           8
        .value_kind:     global_buffer
      - .actual_access:  read_only
        .address_space:  global
        .offset:         48
        .size:           8
        .value_kind:     global_buffer
      - .offset:         56
        .size:           4
        .value_kind:     by_value
      - .actual_access:  read_only
        .address_space:  global
        .offset:         64
        .size:           8
        .value_kind:     global_buffer
      - .actual_access:  read_only
        .address_space:  global
        .offset:         72
        .size:           8
        .value_kind:     global_buffer
      - .address_space:  global
        .offset:         80
        .size:           8
        .value_kind:     global_buffer
    .group_segment_fixed_size: 0
    .kernarg_segment_align: 8
    .kernarg_segment_size: 88
    .language:       OpenCL C
    .language_version:
      - 2
      - 0
    .max_flat_workgroup_size: 156
    .name:           fft_rtc_back_len2028_factors_13_4_3_13_wgs_156_tpt_156_half_ip_CI_unitstride_sbrr_dirReg
    .private_segment_fixed_size: 0
    .sgpr_count:     34
    .sgpr_spill_count: 0
    .symbol:         fft_rtc_back_len2028_factors_13_4_3_13_wgs_156_tpt_156_half_ip_CI_unitstride_sbrr_dirReg.kd
    .uniform_work_group_size: 1
    .uses_dynamic_stack: false
    .vgpr_count:     115
    .vgpr_spill_count: 0
    .wavefront_size: 32
    .workgroup_processor_mode: 1
amdhsa.target:   amdgcn-amd-amdhsa--gfx1201
amdhsa.version:
  - 1
  - 2
...

	.end_amdgpu_metadata
